;; amdgpu-corpus repo=ROCm/rocFFT kind=compiled arch=gfx906 opt=O3
	.text
	.amdgcn_target "amdgcn-amd-amdhsa--gfx906"
	.amdhsa_code_object_version 6
	.protected	fft_rtc_fwd_len294_factors_6_7_7_wgs_126_tpt_42_sp_op_CI_CI_unitstride_sbrr_dirReg ; -- Begin function fft_rtc_fwd_len294_factors_6_7_7_wgs_126_tpt_42_sp_op_CI_CI_unitstride_sbrr_dirReg
	.globl	fft_rtc_fwd_len294_factors_6_7_7_wgs_126_tpt_42_sp_op_CI_CI_unitstride_sbrr_dirReg
	.p2align	8
	.type	fft_rtc_fwd_len294_factors_6_7_7_wgs_126_tpt_42_sp_op_CI_CI_unitstride_sbrr_dirReg,@function
fft_rtc_fwd_len294_factors_6_7_7_wgs_126_tpt_42_sp_op_CI_CI_unitstride_sbrr_dirReg: ; @fft_rtc_fwd_len294_factors_6_7_7_wgs_126_tpt_42_sp_op_CI_CI_unitstride_sbrr_dirReg
; %bb.0:
	s_load_dwordx4 s[8:11], s[4:5], 0x58
	s_load_dwordx4 s[12:15], s[4:5], 0x0
	;; [unrolled: 1-line block ×3, first 2 shown]
	v_mul_u32_u24_e32 v1, 0x619, v0
	v_lshrrev_b32_e32 v1, 16, v1
	v_mad_u64_u32 v[3:4], s[0:1], s6, 3, v[1:2]
	v_mov_b32_e32 v5, 0
	v_mov_b32_e32 v1, 0
	;; [unrolled: 1-line block ×3, first 2 shown]
	s_waitcnt lgkmcnt(0)
	v_cmp_lt_u64_e64 s[0:1], s[14:15], 2
	v_mov_b32_e32 v2, 0
	v_mov_b32_e32 v21, v2
	;; [unrolled: 1-line block ×3, first 2 shown]
	s_and_b64 vcc, exec, s[0:1]
	v_mov_b32_e32 v20, v1
	v_mov_b32_e32 v22, v3
	s_cbranch_vccnz .LBB0_8
; %bb.1:
	s_load_dwordx2 s[0:1], s[4:5], 0x10
	s_add_u32 s2, s18, 8
	s_addc_u32 s3, s19, 0
	s_add_u32 s6, s16, 8
	v_mov_b32_e32 v1, 0
	s_addc_u32 s7, s17, 0
	v_mov_b32_e32 v2, 0
	s_waitcnt lgkmcnt(0)
	s_add_u32 s20, s0, 8
	v_mov_b32_e32 v21, v2
	v_mov_b32_e32 v8, v4
	s_addc_u32 s21, s1, 0
	s_mov_b64 s[22:23], 1
	v_mov_b32_e32 v20, v1
	v_mov_b32_e32 v7, v3
.LBB0_2:                                ; =>This Inner Loop Header: Depth=1
	s_load_dwordx2 s[24:25], s[20:21], 0x0
                                        ; implicit-def: $vgpr22_vgpr23
	s_waitcnt lgkmcnt(0)
	v_or_b32_e32 v6, s25, v8
	v_cmp_ne_u64_e32 vcc, 0, v[5:6]
	s_and_saveexec_b64 s[0:1], vcc
	s_xor_b64 s[26:27], exec, s[0:1]
	s_cbranch_execz .LBB0_4
; %bb.3:                                ;   in Loop: Header=BB0_2 Depth=1
	v_cvt_f32_u32_e32 v4, s24
	v_cvt_f32_u32_e32 v6, s25
	s_sub_u32 s0, 0, s24
	s_subb_u32 s1, 0, s25
	v_mac_f32_e32 v4, 0x4f800000, v6
	v_rcp_f32_e32 v4, v4
	v_mul_f32_e32 v4, 0x5f7ffffc, v4
	v_mul_f32_e32 v6, 0x2f800000, v4
	v_trunc_f32_e32 v6, v6
	v_mac_f32_e32 v4, 0xcf800000, v6
	v_cvt_u32_f32_e32 v6, v6
	v_cvt_u32_f32_e32 v4, v4
	v_mul_lo_u32 v9, s0, v6
	v_mul_hi_u32 v10, s0, v4
	v_mul_lo_u32 v12, s1, v4
	v_mul_lo_u32 v11, s0, v4
	v_add_u32_e32 v9, v10, v9
	v_add_u32_e32 v9, v9, v12
	v_mul_hi_u32 v10, v4, v11
	v_mul_lo_u32 v12, v4, v9
	v_mul_hi_u32 v14, v4, v9
	v_mul_hi_u32 v13, v6, v11
	v_mul_lo_u32 v11, v6, v11
	v_mul_hi_u32 v15, v6, v9
	v_add_co_u32_e32 v10, vcc, v10, v12
	v_addc_co_u32_e32 v12, vcc, 0, v14, vcc
	v_mul_lo_u32 v9, v6, v9
	v_add_co_u32_e32 v10, vcc, v10, v11
	v_addc_co_u32_e32 v10, vcc, v12, v13, vcc
	v_addc_co_u32_e32 v11, vcc, 0, v15, vcc
	v_add_co_u32_e32 v9, vcc, v10, v9
	v_addc_co_u32_e32 v10, vcc, 0, v11, vcc
	v_add_co_u32_e32 v4, vcc, v4, v9
	v_addc_co_u32_e32 v6, vcc, v6, v10, vcc
	v_mul_lo_u32 v9, s0, v6
	v_mul_hi_u32 v10, s0, v4
	v_mul_lo_u32 v11, s1, v4
	v_mul_lo_u32 v12, s0, v4
	v_add_u32_e32 v9, v10, v9
	v_add_u32_e32 v9, v9, v11
	v_mul_lo_u32 v13, v4, v9
	v_mul_hi_u32 v14, v4, v12
	v_mul_hi_u32 v15, v4, v9
	;; [unrolled: 1-line block ×3, first 2 shown]
	v_mul_lo_u32 v12, v6, v12
	v_mul_hi_u32 v10, v6, v9
	v_add_co_u32_e32 v13, vcc, v14, v13
	v_addc_co_u32_e32 v14, vcc, 0, v15, vcc
	v_mul_lo_u32 v9, v6, v9
	v_add_co_u32_e32 v12, vcc, v13, v12
	v_addc_co_u32_e32 v11, vcc, v14, v11, vcc
	v_addc_co_u32_e32 v10, vcc, 0, v10, vcc
	v_add_co_u32_e32 v9, vcc, v11, v9
	v_addc_co_u32_e32 v10, vcc, 0, v10, vcc
	v_add_co_u32_e32 v4, vcc, v4, v9
	v_addc_co_u32_e32 v6, vcc, v6, v10, vcc
	v_mad_u64_u32 v[9:10], s[0:1], v7, v6, 0
	v_mul_hi_u32 v11, v7, v4
	v_add_co_u32_e32 v13, vcc, v11, v9
	v_addc_co_u32_e32 v14, vcc, 0, v10, vcc
	v_mad_u64_u32 v[9:10], s[0:1], v8, v4, 0
	v_mad_u64_u32 v[11:12], s[0:1], v8, v6, 0
	v_add_co_u32_e32 v4, vcc, v13, v9
	v_addc_co_u32_e32 v4, vcc, v14, v10, vcc
	v_addc_co_u32_e32 v6, vcc, 0, v12, vcc
	v_add_co_u32_e32 v4, vcc, v4, v11
	v_addc_co_u32_e32 v6, vcc, 0, v6, vcc
	v_mul_lo_u32 v11, s25, v4
	v_mul_lo_u32 v12, s24, v6
	v_mad_u64_u32 v[9:10], s[0:1], s24, v4, 0
	v_add3_u32 v10, v10, v12, v11
	v_sub_u32_e32 v11, v8, v10
	v_mov_b32_e32 v12, s25
	v_sub_co_u32_e32 v9, vcc, v7, v9
	v_subb_co_u32_e64 v11, s[0:1], v11, v12, vcc
	v_subrev_co_u32_e64 v12, s[0:1], s24, v9
	v_subbrev_co_u32_e64 v11, s[0:1], 0, v11, s[0:1]
	v_cmp_le_u32_e64 s[0:1], s25, v11
	v_cndmask_b32_e64 v13, 0, -1, s[0:1]
	v_cmp_le_u32_e64 s[0:1], s24, v12
	v_cndmask_b32_e64 v12, 0, -1, s[0:1]
	v_cmp_eq_u32_e64 s[0:1], s25, v11
	v_cndmask_b32_e64 v11, v13, v12, s[0:1]
	v_add_co_u32_e64 v12, s[0:1], 2, v4
	v_addc_co_u32_e64 v13, s[0:1], 0, v6, s[0:1]
	v_add_co_u32_e64 v14, s[0:1], 1, v4
	v_addc_co_u32_e64 v15, s[0:1], 0, v6, s[0:1]
	v_subb_co_u32_e32 v10, vcc, v8, v10, vcc
	v_cmp_ne_u32_e64 s[0:1], 0, v11
	v_cmp_le_u32_e32 vcc, s25, v10
	v_cndmask_b32_e64 v11, v15, v13, s[0:1]
	v_cndmask_b32_e64 v13, 0, -1, vcc
	v_cmp_le_u32_e32 vcc, s24, v9
	v_cndmask_b32_e64 v9, 0, -1, vcc
	v_cmp_eq_u32_e32 vcc, s25, v10
	v_cndmask_b32_e32 v9, v13, v9, vcc
	v_cmp_ne_u32_e32 vcc, 0, v9
	v_cndmask_b32_e32 v23, v6, v11, vcc
	v_cndmask_b32_e64 v6, v14, v12, s[0:1]
	v_cndmask_b32_e32 v22, v4, v6, vcc
.LBB0_4:                                ;   in Loop: Header=BB0_2 Depth=1
	s_andn2_saveexec_b64 s[0:1], s[26:27]
	s_cbranch_execz .LBB0_6
; %bb.5:                                ;   in Loop: Header=BB0_2 Depth=1
	v_cvt_f32_u32_e32 v4, s24
	s_sub_i32 s26, 0, s24
	v_mov_b32_e32 v23, v5
	v_rcp_iflag_f32_e32 v4, v4
	v_mul_f32_e32 v4, 0x4f7ffffe, v4
	v_cvt_u32_f32_e32 v4, v4
	v_mul_lo_u32 v6, s26, v4
	v_mul_hi_u32 v6, v4, v6
	v_add_u32_e32 v4, v4, v6
	v_mul_hi_u32 v4, v7, v4
	v_mul_lo_u32 v6, v4, s24
	v_add_u32_e32 v9, 1, v4
	v_sub_u32_e32 v6, v7, v6
	v_subrev_u32_e32 v10, s24, v6
	v_cmp_le_u32_e32 vcc, s24, v6
	v_cndmask_b32_e32 v6, v6, v10, vcc
	v_cndmask_b32_e32 v4, v4, v9, vcc
	v_add_u32_e32 v9, 1, v4
	v_cmp_le_u32_e32 vcc, s24, v6
	v_cndmask_b32_e32 v22, v4, v9, vcc
.LBB0_6:                                ;   in Loop: Header=BB0_2 Depth=1
	s_or_b64 exec, exec, s[0:1]
	v_mul_lo_u32 v4, v23, s24
	v_mul_lo_u32 v6, v22, s25
	v_mad_u64_u32 v[9:10], s[0:1], v22, s24, 0
	s_load_dwordx2 s[0:1], s[6:7], 0x0
	s_load_dwordx2 s[24:25], s[2:3], 0x0
	v_add3_u32 v4, v10, v6, v4
	v_sub_co_u32_e32 v6, vcc, v7, v9
	v_subb_co_u32_e32 v4, vcc, v8, v4, vcc
	s_waitcnt lgkmcnt(0)
	v_mul_lo_u32 v7, s0, v4
	v_mul_lo_u32 v8, s1, v6
	v_mad_u64_u32 v[1:2], s[0:1], s0, v6, v[1:2]
	s_add_u32 s22, s22, 1
	s_addc_u32 s23, s23, 0
	s_add_u32 s2, s2, 8
	v_mul_lo_u32 v4, s24, v4
	v_mul_lo_u32 v9, s25, v6
	v_mad_u64_u32 v[20:21], s[0:1], s24, v6, v[20:21]
	v_add3_u32 v2, v8, v2, v7
	s_addc_u32 s3, s3, 0
	v_mov_b32_e32 v6, s14
	s_add_u32 s6, s6, 8
	v_mov_b32_e32 v7, s15
	s_addc_u32 s7, s7, 0
	v_cmp_ge_u64_e32 vcc, s[22:23], v[6:7]
	s_add_u32 s20, s20, 8
	v_add3_u32 v21, v9, v21, v4
	s_addc_u32 s21, s21, 0
	s_cbranch_vccnz .LBB0_8
; %bb.7:                                ;   in Loop: Header=BB0_2 Depth=1
	v_mov_b32_e32 v7, v22
	v_mov_b32_e32 v8, v23
	s_branch .LBB0_2
.LBB0_8:
	s_mov_b32 s2, 0xaaaaaaab
	s_load_dwordx2 s[0:1], s[4:5], 0x28
	v_mul_hi_u32 v4, v3, s2
	s_lshl_b64 s[6:7], s[14:15], 3
	s_add_u32 s2, s18, s6
	s_addc_u32 s3, s19, s7
	v_lshrrev_b32_e32 v4, 1, v4
	v_lshl_add_u32 v4, v4, 1, v4
	s_waitcnt lgkmcnt(0)
	v_cmp_gt_u64_e32 vcc, s[0:1], v[22:23]
	v_cmp_le_u64_e64 s[0:1], s[0:1], v[22:23]
	v_sub_u32_e32 v3, v3, v4
                                        ; implicit-def: $vgpr24
                                        ; implicit-def: $vgpr31
	s_and_saveexec_b64 s[4:5], s[0:1]
	s_xor_b64 s[0:1], exec, s[4:5]
; %bb.9:
	s_mov_b32 s4, 0x6186187
	v_mul_hi_u32 v1, v0, s4
	v_mul_u32_u24_e32 v1, 42, v1
	v_sub_u32_e32 v24, v0, v1
	v_add_u32_e32 v31, 42, v24
                                        ; implicit-def: $vgpr0
                                        ; implicit-def: $vgpr1_vgpr2
; %bb.10:
	s_or_saveexec_b64 s[4:5], s[0:1]
	v_mul_u32_u24_e32 v3, 0x126, v3
	v_lshlrev_b32_e32 v29, 3, v3
	s_xor_b64 exec, exec, s[4:5]
	s_cbranch_execz .LBB0_12
; %bb.11:
	s_add_u32 s0, s16, s6
	s_addc_u32 s1, s17, s7
	s_load_dwordx2 s[0:1], s[0:1], 0x0
	s_mov_b32 s6, 0x6186187
	v_mul_hi_u32 v5, v0, s6
	s_waitcnt lgkmcnt(0)
	v_mul_lo_u32 v6, s1, v22
	v_mul_lo_u32 v7, s0, v23
	v_mad_u64_u32 v[3:4], s[0:1], s0, v22, 0
	v_mul_u32_u24_e32 v5, 42, v5
	v_sub_u32_e32 v24, v0, v5
	v_add3_u32 v4, v4, v7, v6
	v_lshlrev_b64 v[3:4], 3, v[3:4]
	v_mov_b32_e32 v0, s9
	v_add_co_u32_e64 v3, s[0:1], s8, v3
	v_addc_co_u32_e64 v4, s[0:1], v0, v4, s[0:1]
	v_lshlrev_b64 v[0:1], 3, v[1:2]
	v_lshlrev_b32_e32 v16, 3, v24
	v_add_co_u32_e64 v0, s[0:1], v3, v0
	v_addc_co_u32_e64 v1, s[0:1], v4, v1, s[0:1]
	v_add_co_u32_e64 v0, s[0:1], v0, v16
	v_addc_co_u32_e64 v1, s[0:1], 0, v1, s[0:1]
	global_load_dwordx2 v[2:3], v[0:1], off
	global_load_dwordx2 v[4:5], v[0:1], off offset:336
	global_load_dwordx2 v[6:7], v[0:1], off offset:672
	;; [unrolled: 1-line block ×6, first 2 shown]
	v_add_u32_e32 v31, 42, v24
	v_add3_u32 v0, 0, v29, v16
	s_waitcnt vmcnt(5)
	ds_write2_b64 v0, v[2:3], v[4:5] offset1:42
	s_waitcnt vmcnt(3)
	ds_write2_b64 v0, v[6:7], v[8:9] offset0:84 offset1:126
	s_waitcnt vmcnt(1)
	ds_write2_b64 v0, v[10:11], v[12:13] offset0:168 offset1:210
	s_waitcnt vmcnt(0)
	ds_write_b64 v0, v[14:15] offset:2016
.LBB0_12:
	s_or_b64 exec, exec, s[4:5]
	v_lshlrev_b32_e32 v0, 3, v24
	v_add_u32_e32 v27, 0, v29
	v_add3_u32 v28, 0, v0, v29
	s_load_dwordx2 s[2:3], s[2:3], 0x0
	s_waitcnt lgkmcnt(0)
	s_barrier
	v_add_u32_e32 v30, v27, v0
	ds_read2_b64 v[0:3], v28 offset0:91 offset1:98
	ds_read2_b64 v[4:7], v28 offset0:189 offset1:196
	ds_read_b64 v[32:33], v30
	ds_read2_b64 v[8:11], v28 offset0:42 offset1:49
	ds_read2_b64 v[12:15], v28 offset0:140 offset1:147
	;; [unrolled: 1-line block ×3, first 2 shown]
	ds_read_b64 v[25:26], v28 offset:2296
	s_waitcnt lgkmcnt(5)
	v_add_f32_e32 v35, v3, v7
	s_waitcnt lgkmcnt(4)
	v_add_f32_e32 v34, v33, v3
	v_fmac_f32_e32 v33, -0.5, v35
	s_waitcnt lgkmcnt(1)
	v_add_f32_e32 v36, v15, v19
	v_add_f32_e32 v35, v11, v15
	v_fmac_f32_e32 v11, -0.5, v36
	v_add_f32_e32 v36, v14, v18
	v_fma_f32 v36, -0.5, v36, v10
	v_sub_f32_e32 v38, v14, v18
	v_mov_b32_e32 v39, v11
	v_sub_f32_e32 v15, v15, v19
	v_mov_b32_e32 v37, v36
	v_fmac_f32_e32 v39, 0xbf5db3d7, v38
	v_fmac_f32_e32 v37, 0x3f5db3d7, v15
	v_mul_f32_e32 v40, 0x3f5db3d7, v39
	v_fmac_f32_e32 v40, 0.5, v37
	v_mul_f32_e32 v37, 0xbf5db3d7, v37
	v_add_f32_e32 v41, v2, v6
	v_fmac_f32_e32 v37, 0.5, v39
	v_add_f32_e32 v39, v32, v2
	v_fma_f32 v32, -0.5, v41, v32
	v_sub_f32_e32 v41, v3, v7
	v_mov_b32_e32 v42, v32
	v_sub_f32_e32 v43, v2, v6
	v_mov_b32_e32 v44, v33
	v_add_f32_e32 v2, v10, v14
	v_add_f32_e32 v39, v39, v6
	v_fmac_f32_e32 v42, 0x3f5db3d7, v41
	v_add_f32_e32 v34, v34, v7
	v_fmac_f32_e32 v44, 0xbf5db3d7, v43
	v_add_f32_e32 v10, v2, v18
	v_add_f32_e32 v14, v35, v19
	;; [unrolled: 1-line block ×6, first 2 shown]
	v_mad_u32_u24 v18, v24, 40, v28
	v_fmac_f32_e32 v36, 0xbf5db3d7, v15
	v_fmac_f32_e32 v11, 0x3f5db3d7, v38
	s_waitcnt lgkmcnt(0)
	s_barrier
	ds_write2_b64 v18, v[2:3], v[6:7] offset1:1
	v_sub_f32_e32 v2, v39, v10
	v_sub_f32_e32 v3, v34, v14
	v_mul_f32_e32 v10, -0.5, v11
	v_mul_f32_e32 v14, -0.5, v36
	v_fmac_f32_e32 v32, 0xbf5db3d7, v41
	v_fmac_f32_e32 v33, 0x3f5db3d7, v43
	;; [unrolled: 1-line block ×4, first 2 shown]
	v_add_f32_e32 v6, v32, v14
	v_add_f32_e32 v7, v33, v10
	ds_write2_b64 v18, v[6:7], v[2:3] offset0:2 offset1:3
	v_sub_f32_e32 v3, v33, v10
	v_sub_f32_e32 v2, v32, v14
	;; [unrolled: 1-line block ×4, first 2 shown]
	v_cmp_gt_u32_e64 s[0:1], 7, v24
	ds_write2_b64 v18, v[6:7], v[2:3] offset0:4 offset1:5
	s_and_saveexec_b64 s[4:5], s[0:1]
	s_cbranch_execz .LBB0_14
; %bb.13:
	v_add_f32_e32 v2, v13, v17
	v_fma_f32 v7, -0.5, v2, v9
	v_add_f32_e32 v2, v4, v25
	v_fma_f32 v11, -0.5, v2, v0
	;; [unrolled: 2-line block ×3, first 2 shown]
	v_add_f32_e32 v1, v1, v5
	v_sub_f32_e32 v6, v5, v26
	v_add_f32_e32 v26, v1, v26
	v_add_f32_e32 v1, v12, v16
	v_sub_f32_e32 v3, v12, v16
	v_mov_b32_e32 v10, v7
	v_mov_b32_e32 v14, v11
	v_sub_f32_e32 v15, v4, v25
	v_mov_b32_e32 v19, v18
	v_fmac_f32_e32 v11, 0x3f5db3d7, v6
	v_fma_f32 v33, -0.5, v1, v8
	v_add_f32_e32 v8, v8, v12
	v_add_f32_e32 v0, v0, v4
	v_fmac_f32_e32 v10, 0x3f5db3d7, v3
	v_fmac_f32_e32 v19, 0x3f5db3d7, v15
	;; [unrolled: 1-line block ×4, first 2 shown]
	v_mul_f32_e32 v3, 0xbf5db3d7, v11
	v_add_f32_e32 v12, v8, v16
	v_add_f32_e32 v0, v0, v25
	v_fmac_f32_e32 v14, 0xbf5db3d7, v6
	v_mul_f32_e32 v32, -0.5, v19
	v_fmac_f32_e32 v3, 0.5, v18
	v_add_f32_e32 v9, v9, v13
	v_sub_f32_e32 v5, v13, v17
	v_mul_f32_e32 v18, 0x3f5db3d7, v18
	v_sub_f32_e32 v8, v12, v0
	v_add_f32_e32 v12, v12, v0
	v_mul_i32_i24_e32 v0, 6, v31
	v_fmac_f32_e32 v32, 0xbf5db3d7, v14
	v_add_f32_e32 v15, v9, v17
	v_mov_b32_e32 v17, v33
	v_mul_f32_e32 v14, -0.5, v14
	v_fmac_f32_e32 v33, 0x3f5db3d7, v5
	v_fmac_f32_e32 v18, 0.5, v11
	v_lshlrev_b32_e32 v0, 3, v0
	v_sub_f32_e32 v2, v10, v32
	v_fmac_f32_e32 v17, 0xbf5db3d7, v5
	v_fmac_f32_e32 v14, 0x3f5db3d7, v19
	v_add_f32_e32 v4, v10, v32
	v_add_f32_e32 v11, v7, v3
	;; [unrolled: 1-line block ×4, first 2 shown]
	v_add3_u32 v0, 0, v0, v29
	v_sub_f32_e32 v6, v7, v3
	v_sub_f32_e32 v9, v15, v26
	;; [unrolled: 1-line block ×4, first 2 shown]
	v_add_f32_e32 v3, v17, v14
	ds_write2_b64 v0, v[12:13], v[10:11] offset1:1
	ds_write2_b64 v0, v[3:4], v[8:9] offset0:2 offset1:3
	ds_write2_b64 v0, v[5:6], v[1:2] offset0:4 offset1:5
.LBB0_14:
	s_or_b64 exec, exec, s[4:5]
	s_movk_i32 s0, 0xab
	v_mul_lo_u16_sdwa v0, v24, s0 dst_sel:DWORD dst_unused:UNUSED_PAD src0_sel:BYTE_0 src1_sel:DWORD
	v_lshrrev_b16_e32 v35, 10, v0
	v_mul_lo_u16_e32 v0, 6, v35
	v_sub_u16_e32 v36, v24, v0
	v_mov_b32_e32 v0, 6
	v_mul_u32_u24_sdwa v0, v36, v0 dst_sel:DWORD dst_unused:UNUSED_PAD src0_sel:BYTE_0 src1_sel:DWORD
	v_lshlrev_b32_e32 v12, 3, v0
	s_waitcnt lgkmcnt(0)
	s_barrier
	global_load_dwordx4 v[0:3], v12, s[12:13]
	global_load_dwordx4 v[4:7], v12, s[12:13] offset:16
	global_load_dwordx4 v[8:11], v12, s[12:13] offset:32
	v_lshlrev_b32_e32 v16, 3, v31
	ds_read2_b64 v[12:15], v28 offset0:84 offset1:126
	v_add3_u32 v38, 0, v16, v29
	ds_read_b64 v[25:26], v30
	ds_read_b64 v[31:32], v38
	ds_read2_b64 v[16:19], v28 offset0:168 offset1:210
	ds_read_b64 v[33:34], v28 offset:2016
	s_mov_b32 s1, 0x3f3bfb3b
	s_mov_b32 s4, 0xbf3bfb3b
	;; [unrolled: 1-line block ×4, first 2 shown]
	s_movk_i32 s6, 0x150
	v_mul_u32_u24_e32 v37, 6, v24
	s_waitcnt vmcnt(0) lgkmcnt(0)
	s_barrier
	v_mul_f32_e32 v39, v1, v32
	v_mul_f32_e32 v1, v1, v31
	;; [unrolled: 1-line block ×9, first 2 shown]
	v_fma_f32 v31, v0, v31, -v39
	v_fmac_f32_e32 v1, v0, v32
	v_mul_f32_e32 v0, v9, v18
	v_mul_f32_e32 v9, v11, v34
	v_fma_f32 v12, v2, v12, -v40
	v_fmac_f32_e32 v3, v2, v13
	v_mul_f32_e32 v2, v11, v33
	v_fma_f32 v11, v4, v14, -v41
	v_fmac_f32_e32 v5, v4, v15
	v_fma_f32 v4, v6, v16, -v42
	v_fmac_f32_e32 v7, v6, v17
	;; [unrolled: 2-line block ×4, first 2 shown]
	v_add_f32_e32 v9, v31, v8
	v_add_f32_e32 v10, v1, v2
	v_sub_f32_e32 v1, v1, v2
	v_add_f32_e32 v2, v12, v6
	v_add_f32_e32 v13, v3, v0
	v_sub_f32_e32 v6, v12, v6
	v_sub_f32_e32 v0, v3, v0
	v_add_f32_e32 v3, v11, v4
	v_add_f32_e32 v12, v5, v7
	v_sub_f32_e32 v4, v4, v11
	;; [unrolled: 4-line block ×3, first 2 shown]
	v_sub_f32_e32 v14, v2, v9
	v_sub_f32_e32 v9, v9, v3
	;; [unrolled: 1-line block ×3, first 2 shown]
	v_add_f32_e32 v17, v5, v0
	v_add_f32_e32 v3, v3, v7
	;; [unrolled: 1-line block ×3, first 2 shown]
	v_sub_f32_e32 v15, v13, v10
	v_sub_f32_e32 v10, v10, v12
	;; [unrolled: 1-line block ×3, first 2 shown]
	v_add_f32_e32 v16, v4, v6
	v_sub_f32_e32 v18, v4, v6
	v_sub_f32_e32 v19, v5, v0
	;; [unrolled: 1-line block ×5, first 2 shown]
	v_add_f32_e32 v11, v17, v1
	v_add_f32_e32 v0, v3, v25
	;; [unrolled: 1-line block ×3, first 2 shown]
	v_sub_f32_e32 v4, v8, v4
	v_add_f32_e32 v8, v16, v8
	v_mul_f32_e32 v9, 0x3f4a47b2, v9
	v_mul_f32_e32 v10, 0x3f4a47b2, v10
	;; [unrolled: 1-line block ×7, first 2 shown]
	v_mov_b32_e32 v25, v0
	v_mov_b32_e32 v26, v1
	v_mul_f32_e32 v32, 0x3f5ff5aa, v31
	v_fma_f32 v12, v14, s1, -v12
	v_fmac_f32_e32 v25, 0xbf955555, v3
	v_fmac_f32_e32 v26, 0xbf955555, v7
	v_fma_f32 v3, v15, s1, -v16
	v_fma_f32 v7, v14, s4, -v9
	v_fmac_f32_e32 v9, 0x3d64c772, v2
	v_fma_f32 v2, v15, s4, -v10
	v_fma_f32 v15, v4, s5, -v19
	;; [unrolled: 1-line block ×3, first 2 shown]
	v_fmac_f32_e32 v18, 0x3eae86e6, v5
	v_fma_f32 v16, v5, s5, -v32
	v_add_f32_e32 v19, v9, v25
	v_add_f32_e32 v9, v12, v25
	;; [unrolled: 1-line block ×4, first 2 shown]
	v_fmac_f32_e32 v15, 0x3ee1c552, v8
	v_fmac_f32_e32 v10, 0x3d64c772, v13
	v_fma_f32 v13, v6, s0, -v17
	v_fmac_f32_e32 v17, 0x3eae86e6, v4
	v_fmac_f32_e32 v18, 0x3ee1c552, v11
	;; [unrolled: 1-line block ×4, first 2 shown]
	v_sub_f32_e32 v5, v25, v15
	v_add_f32_e32 v11, v15, v25
	v_mov_b32_e32 v15, 3
	v_add_f32_e32 v31, v10, v26
	v_add_f32_e32 v10, v3, v26
	v_fmac_f32_e32 v17, 0x3ee1c552, v8
	v_fmac_f32_e32 v13, 0x3ee1c552, v8
	v_sub_f32_e32 v6, v9, v14
	v_add_f32_e32 v8, v14, v9
	v_mad_u32_u24 v14, v35, s6, 0
	v_lshlrev_b32_sdwa v15, v15, v36 dst_sel:DWORD dst_unused:UNUSED_PAD src0_sel:DWORD src1_sel:BYTE_0
	v_add_f32_e32 v2, v18, v19
	v_sub_f32_e32 v3, v31, v17
	v_add_f32_e32 v4, v16, v12
	v_add_f32_e32 v7, v13, v10
	v_sub_f32_e32 v9, v10, v13
	v_sub_f32_e32 v10, v12, v16
	;; [unrolled: 1-line block ×3, first 2 shown]
	v_add3_u32 v14, v14, v15, v29
	v_add_f32_e32 v13, v17, v31
	ds_write2_b64 v14, v[0:1], v[2:3] offset1:6
	ds_write2_b64 v14, v[4:5], v[6:7] offset0:12 offset1:18
	ds_write2_b64 v14, v[8:9], v[10:11] offset0:24 offset1:30
	ds_write_b64 v14, v[12:13] offset:288
	v_lshlrev_b32_e32 v12, 3, v37
	s_waitcnt lgkmcnt(0)
	s_barrier
	global_load_dwordx4 v[0:3], v12, s[12:13] offset:288
	global_load_dwordx4 v[4:7], v12, s[12:13] offset:304
	;; [unrolled: 1-line block ×3, first 2 shown]
	ds_read_b64 v[25:26], v38
	ds_read_b64 v[29:30], v30
	ds_read2_b64 v[12:15], v28 offset0:84 offset1:126
	ds_read2_b64 v[16:19], v28 offset0:168 offset1:210
	ds_read_b64 v[31:32], v28 offset:2016
	s_waitcnt vmcnt(0) lgkmcnt(0)
	s_barrier
	v_mul_f32_e32 v33, v1, v26
	v_mul_f32_e32 v1, v1, v25
	;; [unrolled: 1-line block ×12, first 2 shown]
	v_fma_f32 v25, v0, v25, -v33
	v_fmac_f32_e32 v1, v0, v26
	v_fma_f32 v0, v2, v12, -v34
	v_fmac_f32_e32 v3, v2, v13
	;; [unrolled: 2-line block ×6, first 2 shown]
	v_add_f32_e32 v10, v25, v8
	v_add_f32_e32 v12, v1, v11
	v_sub_f32_e32 v1, v1, v11
	v_add_f32_e32 v11, v0, v6
	v_add_f32_e32 v13, v3, v9
	v_sub_f32_e32 v0, v0, v6
	v_sub_f32_e32 v3, v3, v9
	v_add_f32_e32 v6, v2, v4
	v_add_f32_e32 v9, v5, v7
	v_sub_f32_e32 v2, v4, v2
	v_sub_f32_e32 v4, v7, v5
	v_add_f32_e32 v5, v11, v10
	v_sub_f32_e32 v8, v25, v8
	v_add_f32_e32 v7, v13, v12
	v_add_f32_e32 v5, v6, v5
	v_sub_f32_e32 v14, v11, v10
	v_sub_f32_e32 v10, v10, v6
	;; [unrolled: 1-line block ×3, first 2 shown]
	v_add_f32_e32 v16, v2, v0
	v_add_f32_e32 v17, v4, v3
	v_sub_f32_e32 v18, v2, v0
	v_sub_f32_e32 v25, v0, v8
	v_add_f32_e32 v6, v9, v7
	v_add_f32_e32 v0, v5, v29
	v_sub_f32_e32 v15, v13, v12
	v_sub_f32_e32 v12, v12, v9
	;; [unrolled: 1-line block ×7, first 2 shown]
	v_add_f32_e32 v7, v16, v8
	v_add_f32_e32 v8, v17, v1
	;; [unrolled: 1-line block ×3, first 2 shown]
	v_mov_b32_e32 v29, v0
	v_mul_f32_e32 v9, 0x3f4a47b2, v10
	v_mul_f32_e32 v10, 0x3f4a47b2, v12
	;; [unrolled: 1-line block ×6, first 2 shown]
	v_fmac_f32_e32 v29, 0xbf955555, v5
	v_mov_b32_e32 v5, v1
	v_mul_f32_e32 v19, 0x3f5ff5aa, v25
	v_mul_f32_e32 v26, 0x3f5ff5aa, v3
	v_fmac_f32_e32 v5, 0xbf955555, v6
	v_fma_f32 v6, v14, s1, -v12
	v_fma_f32 v12, v15, s1, -v16
	;; [unrolled: 1-line block ×3, first 2 shown]
	v_fmac_f32_e32 v9, 0x3d64c772, v11
	v_fma_f32 v11, v15, s4, -v10
	v_fmac_f32_e32 v10, 0x3d64c772, v13
	v_fma_f32 v13, v25, s0, -v17
	;; [unrolled: 2-line block ×4, first 2 shown]
	v_fma_f32 v19, v4, s5, -v26
	v_add_f32_e32 v25, v9, v29
	v_add_f32_e32 v26, v10, v5
	v_fmac_f32_e32 v17, 0x3ee1c552, v7
	v_fmac_f32_e32 v18, 0x3ee1c552, v8
	v_add_f32_e32 v9, v6, v29
	v_add_f32_e32 v10, v12, v5
	;; [unrolled: 1-line block ×4, first 2 shown]
	v_fmac_f32_e32 v13, 0x3ee1c552, v7
	v_fmac_f32_e32 v15, 0x3ee1c552, v8
	;; [unrolled: 1-line block ×4, first 2 shown]
	v_add_f32_e32 v2, v18, v25
	v_sub_f32_e32 v3, v26, v17
	v_add_f32_e32 v4, v19, v12
	v_sub_f32_e32 v5, v11, v16
	v_sub_f32_e32 v6, v9, v15
	v_add_f32_e32 v7, v13, v10
	v_add_f32_e32 v8, v15, v9
	v_sub_f32_e32 v9, v10, v13
	v_sub_f32_e32 v10, v12, v19
	v_add_f32_e32 v11, v16, v11
	v_sub_f32_e32 v12, v25, v18
	v_add_f32_e32 v13, v17, v26
	ds_write2_b64 v28, v[0:1], v[2:3] offset1:42
	ds_write2_b64 v28, v[4:5], v[6:7] offset0:84 offset1:126
	ds_write2_b64 v28, v[8:9], v[10:11] offset0:168 offset1:210
	ds_write_b64 v28, v[12:13] offset:2016
	s_waitcnt lgkmcnt(0)
	s_barrier
	s_and_saveexec_b64 s[0:1], vcc
	s_cbranch_execz .LBB0_16
; %bb.15:
	v_mul_lo_u32 v0, s3, v22
	v_mul_lo_u32 v1, s2, v23
	v_mad_u64_u32 v[4:5], s[0:1], s2, v22, 0
	v_mov_b32_e32 v7, s11
	v_lshl_add_u32 v6, v24, 3, v27
	v_add3_u32 v5, v5, v1, v0
	v_lshlrev_b64 v[4:5], 3, v[4:5]
	v_mov_b32_e32 v25, 0
	v_add_co_u32_e32 v8, vcc, s10, v4
	v_addc_co_u32_e32 v7, vcc, v7, v5, vcc
	v_lshlrev_b64 v[4:5], 3, v[20:21]
	ds_read2_b64 v[0:3], v6 offset1:42
	v_add_co_u32_e32 v8, vcc, v8, v4
	v_addc_co_u32_e32 v7, vcc, v7, v5, vcc
	v_lshlrev_b64 v[4:5], 3, v[24:25]
	v_add_co_u32_e32 v4, vcc, v8, v4
	v_addc_co_u32_e32 v5, vcc, v7, v5, vcc
	s_waitcnt lgkmcnt(0)
	global_store_dwordx2 v[4:5], v[0:1], off
	v_add_u32_e32 v0, 42, v24
	v_mov_b32_e32 v1, v25
	v_lshlrev_b64 v[0:1], 3, v[0:1]
	v_add_u32_e32 v4, 0x54, v24
	v_add_co_u32_e32 v0, vcc, v8, v0
	v_addc_co_u32_e32 v1, vcc, v7, v1, vcc
	global_store_dwordx2 v[0:1], v[2:3], off
	v_mov_b32_e32 v5, v25
	ds_read2_b64 v[0:3], v6 offset0:84 offset1:126
	v_lshlrev_b64 v[4:5], 3, v[4:5]
	v_add_co_u32_e32 v4, vcc, v8, v4
	v_addc_co_u32_e32 v5, vcc, v7, v5, vcc
	s_waitcnt lgkmcnt(0)
	global_store_dwordx2 v[4:5], v[0:1], off
	v_add_u32_e32 v0, 0x7e, v24
	v_mov_b32_e32 v1, v25
	v_lshlrev_b64 v[0:1], 3, v[0:1]
	v_add_u32_e32 v4, 0xa8, v24
	v_add_co_u32_e32 v0, vcc, v8, v0
	v_addc_co_u32_e32 v1, vcc, v7, v1, vcc
	global_store_dwordx2 v[0:1], v[2:3], off
	v_mov_b32_e32 v5, v25
	ds_read2_b64 v[0:3], v6 offset0:168 offset1:210
	v_lshlrev_b64 v[4:5], 3, v[4:5]
	v_add_co_u32_e32 v4, vcc, v8, v4
	v_addc_co_u32_e32 v5, vcc, v7, v5, vcc
	s_waitcnt lgkmcnt(0)
	global_store_dwordx2 v[4:5], v[0:1], off
	v_add_u32_e32 v0, 0xd2, v24
	v_mov_b32_e32 v1, v25
	v_lshlrev_b64 v[0:1], 3, v[0:1]
	v_add_u32_e32 v24, 0xfc, v24
	v_add_co_u32_e32 v0, vcc, v8, v0
	v_addc_co_u32_e32 v1, vcc, v7, v1, vcc
	global_store_dwordx2 v[0:1], v[2:3], off
	ds_read_b64 v[0:1], v6 offset:2016
	v_lshlrev_b64 v[2:3], 3, v[24:25]
	v_add_co_u32_e32 v2, vcc, v8, v2
	v_addc_co_u32_e32 v3, vcc, v7, v3, vcc
	s_waitcnt lgkmcnt(0)
	global_store_dwordx2 v[2:3], v[0:1], off
.LBB0_16:
	s_endpgm
	.section	.rodata,"a",@progbits
	.p2align	6, 0x0
	.amdhsa_kernel fft_rtc_fwd_len294_factors_6_7_7_wgs_126_tpt_42_sp_op_CI_CI_unitstride_sbrr_dirReg
		.amdhsa_group_segment_fixed_size 0
		.amdhsa_private_segment_fixed_size 0
		.amdhsa_kernarg_size 104
		.amdhsa_user_sgpr_count 6
		.amdhsa_user_sgpr_private_segment_buffer 1
		.amdhsa_user_sgpr_dispatch_ptr 0
		.amdhsa_user_sgpr_queue_ptr 0
		.amdhsa_user_sgpr_kernarg_segment_ptr 1
		.amdhsa_user_sgpr_dispatch_id 0
		.amdhsa_user_sgpr_flat_scratch_init 0
		.amdhsa_user_sgpr_private_segment_size 0
		.amdhsa_uses_dynamic_stack 0
		.amdhsa_system_sgpr_private_segment_wavefront_offset 0
		.amdhsa_system_sgpr_workgroup_id_x 1
		.amdhsa_system_sgpr_workgroup_id_y 0
		.amdhsa_system_sgpr_workgroup_id_z 0
		.amdhsa_system_sgpr_workgroup_info 0
		.amdhsa_system_vgpr_workitem_id 0
		.amdhsa_next_free_vgpr 45
		.amdhsa_next_free_sgpr 28
		.amdhsa_reserve_vcc 1
		.amdhsa_reserve_flat_scratch 0
		.amdhsa_float_round_mode_32 0
		.amdhsa_float_round_mode_16_64 0
		.amdhsa_float_denorm_mode_32 3
		.amdhsa_float_denorm_mode_16_64 3
		.amdhsa_dx10_clamp 1
		.amdhsa_ieee_mode 1
		.amdhsa_fp16_overflow 0
		.amdhsa_exception_fp_ieee_invalid_op 0
		.amdhsa_exception_fp_denorm_src 0
		.amdhsa_exception_fp_ieee_div_zero 0
		.amdhsa_exception_fp_ieee_overflow 0
		.amdhsa_exception_fp_ieee_underflow 0
		.amdhsa_exception_fp_ieee_inexact 0
		.amdhsa_exception_int_div_zero 0
	.end_amdhsa_kernel
	.text
.Lfunc_end0:
	.size	fft_rtc_fwd_len294_factors_6_7_7_wgs_126_tpt_42_sp_op_CI_CI_unitstride_sbrr_dirReg, .Lfunc_end0-fft_rtc_fwd_len294_factors_6_7_7_wgs_126_tpt_42_sp_op_CI_CI_unitstride_sbrr_dirReg
                                        ; -- End function
	.section	.AMDGPU.csdata,"",@progbits
; Kernel info:
; codeLenInByte = 4080
; NumSgprs: 32
; NumVgprs: 45
; ScratchSize: 0
; MemoryBound: 0
; FloatMode: 240
; IeeeMode: 1
; LDSByteSize: 0 bytes/workgroup (compile time only)
; SGPRBlocks: 3
; VGPRBlocks: 11
; NumSGPRsForWavesPerEU: 32
; NumVGPRsForWavesPerEU: 45
; Occupancy: 5
; WaveLimiterHint : 1
; COMPUTE_PGM_RSRC2:SCRATCH_EN: 0
; COMPUTE_PGM_RSRC2:USER_SGPR: 6
; COMPUTE_PGM_RSRC2:TRAP_HANDLER: 0
; COMPUTE_PGM_RSRC2:TGID_X_EN: 1
; COMPUTE_PGM_RSRC2:TGID_Y_EN: 0
; COMPUTE_PGM_RSRC2:TGID_Z_EN: 0
; COMPUTE_PGM_RSRC2:TIDIG_COMP_CNT: 0
	.type	__hip_cuid_80b5b550fd76bbb,@object ; @__hip_cuid_80b5b550fd76bbb
	.section	.bss,"aw",@nobits
	.globl	__hip_cuid_80b5b550fd76bbb
__hip_cuid_80b5b550fd76bbb:
	.byte	0                               ; 0x0
	.size	__hip_cuid_80b5b550fd76bbb, 1

	.ident	"AMD clang version 19.0.0git (https://github.com/RadeonOpenCompute/llvm-project roc-6.4.0 25133 c7fe45cf4b819c5991fe208aaa96edf142730f1d)"
	.section	".note.GNU-stack","",@progbits
	.addrsig
	.addrsig_sym __hip_cuid_80b5b550fd76bbb
	.amdgpu_metadata
---
amdhsa.kernels:
  - .args:
      - .actual_access:  read_only
        .address_space:  global
        .offset:         0
        .size:           8
        .value_kind:     global_buffer
      - .offset:         8
        .size:           8
        .value_kind:     by_value
      - .actual_access:  read_only
        .address_space:  global
        .offset:         16
        .size:           8
        .value_kind:     global_buffer
      - .actual_access:  read_only
        .address_space:  global
        .offset:         24
        .size:           8
        .value_kind:     global_buffer
      - .actual_access:  read_only
        .address_space:  global
        .offset:         32
        .size:           8
        .value_kind:     global_buffer
      - .offset:         40
        .size:           8
        .value_kind:     by_value
      - .actual_access:  read_only
        .address_space:  global
        .offset:         48
        .size:           8
        .value_kind:     global_buffer
      - .actual_access:  read_only
        .address_space:  global
        .offset:         56
        .size:           8
        .value_kind:     global_buffer
      - .offset:         64
        .size:           4
        .value_kind:     by_value
      - .actual_access:  read_only
        .address_space:  global
        .offset:         72
        .size:           8
        .value_kind:     global_buffer
      - .actual_access:  read_only
        .address_space:  global
        .offset:         80
        .size:           8
        .value_kind:     global_buffer
      - .actual_access:  read_only
        .address_space:  global
        .offset:         88
        .size:           8
        .value_kind:     global_buffer
      - .actual_access:  write_only
        .address_space:  global
        .offset:         96
        .size:           8
        .value_kind:     global_buffer
    .group_segment_fixed_size: 0
    .kernarg_segment_align: 8
    .kernarg_segment_size: 104
    .language:       OpenCL C
    .language_version:
      - 2
      - 0
    .max_flat_workgroup_size: 126
    .name:           fft_rtc_fwd_len294_factors_6_7_7_wgs_126_tpt_42_sp_op_CI_CI_unitstride_sbrr_dirReg
    .private_segment_fixed_size: 0
    .sgpr_count:     32
    .sgpr_spill_count: 0
    .symbol:         fft_rtc_fwd_len294_factors_6_7_7_wgs_126_tpt_42_sp_op_CI_CI_unitstride_sbrr_dirReg.kd
    .uniform_work_group_size: 1
    .uses_dynamic_stack: false
    .vgpr_count:     45
    .vgpr_spill_count: 0
    .wavefront_size: 64
amdhsa.target:   amdgcn-amd-amdhsa--gfx906
amdhsa.version:
  - 1
  - 2
...

	.end_amdgpu_metadata
